;; amdgpu-corpus repo=ROCm/rocFFT kind=compiled arch=gfx1030 opt=O3
	.text
	.amdgcn_target "amdgcn-amd-amdhsa--gfx1030"
	.amdhsa_code_object_version 6
	.protected	fft_rtc_back_len840_factors_2_2_2_3_5_7_wgs_56_tpt_56_halfLds_half_ip_CI_unitstride_sbrr_dirReg ; -- Begin function fft_rtc_back_len840_factors_2_2_2_3_5_7_wgs_56_tpt_56_halfLds_half_ip_CI_unitstride_sbrr_dirReg
	.globl	fft_rtc_back_len840_factors_2_2_2_3_5_7_wgs_56_tpt_56_halfLds_half_ip_CI_unitstride_sbrr_dirReg
	.p2align	8
	.type	fft_rtc_back_len840_factors_2_2_2_3_5_7_wgs_56_tpt_56_halfLds_half_ip_CI_unitstride_sbrr_dirReg,@function
fft_rtc_back_len840_factors_2_2_2_3_5_7_wgs_56_tpt_56_halfLds_half_ip_CI_unitstride_sbrr_dirReg: ; @fft_rtc_back_len840_factors_2_2_2_3_5_7_wgs_56_tpt_56_halfLds_half_ip_CI_unitstride_sbrr_dirReg
; %bb.0:
	s_clause 0x2
	s_load_dwordx4 s[8:11], s[4:5], 0x0
	s_load_dwordx2 s[2:3], s[4:5], 0x50
	s_load_dwordx2 s[12:13], s[4:5], 0x18
	v_mul_u32_u24_e32 v1, 0x493, v0
	v_mov_b32_e32 v3, 0
	v_add_nc_u32_sdwa v5, s6, v1 dst_sel:DWORD dst_unused:UNUSED_PAD src0_sel:DWORD src1_sel:WORD_1
	v_mov_b32_e32 v1, 0
	v_mov_b32_e32 v6, v3
	v_mov_b32_e32 v2, 0
	s_waitcnt lgkmcnt(0)
	v_cmp_lt_u64_e64 s0, s[10:11], 2
	s_and_b32 vcc_lo, exec_lo, s0
	s_cbranch_vccnz .LBB0_8
; %bb.1:
	s_load_dwordx2 s[0:1], s[4:5], 0x10
	v_mov_b32_e32 v1, 0
	s_add_u32 s6, s12, 8
	v_mov_b32_e32 v2, 0
	s_addc_u32 s7, s13, 0
	s_mov_b64 s[16:17], 1
	s_waitcnt lgkmcnt(0)
	s_add_u32 s14, s0, 8
	s_addc_u32 s15, s1, 0
.LBB0_2:                                ; =>This Inner Loop Header: Depth=1
	s_load_dwordx2 s[18:19], s[14:15], 0x0
                                        ; implicit-def: $vgpr7_vgpr8
	s_mov_b32 s0, exec_lo
	s_waitcnt lgkmcnt(0)
	v_or_b32_e32 v4, s19, v6
	v_cmpx_ne_u64_e32 0, v[3:4]
	s_xor_b32 s1, exec_lo, s0
	s_cbranch_execz .LBB0_4
; %bb.3:                                ;   in Loop: Header=BB0_2 Depth=1
	v_cvt_f32_u32_e32 v4, s18
	v_cvt_f32_u32_e32 v7, s19
	s_sub_u32 s0, 0, s18
	s_subb_u32 s20, 0, s19
	v_fmac_f32_e32 v4, 0x4f800000, v7
	v_rcp_f32_e32 v4, v4
	v_mul_f32_e32 v4, 0x5f7ffffc, v4
	v_mul_f32_e32 v7, 0x2f800000, v4
	v_trunc_f32_e32 v7, v7
	v_fmac_f32_e32 v4, 0xcf800000, v7
	v_cvt_u32_f32_e32 v7, v7
	v_cvt_u32_f32_e32 v4, v4
	v_mul_lo_u32 v8, s0, v7
	v_mul_hi_u32 v9, s0, v4
	v_mul_lo_u32 v10, s20, v4
	v_add_nc_u32_e32 v8, v9, v8
	v_mul_lo_u32 v9, s0, v4
	v_add_nc_u32_e32 v8, v8, v10
	v_mul_hi_u32 v10, v4, v9
	v_mul_lo_u32 v11, v4, v8
	v_mul_hi_u32 v12, v4, v8
	v_mul_hi_u32 v13, v7, v9
	v_mul_lo_u32 v9, v7, v9
	v_mul_hi_u32 v14, v7, v8
	v_mul_lo_u32 v8, v7, v8
	v_add_co_u32 v10, vcc_lo, v10, v11
	v_add_co_ci_u32_e32 v11, vcc_lo, 0, v12, vcc_lo
	v_add_co_u32 v9, vcc_lo, v10, v9
	v_add_co_ci_u32_e32 v9, vcc_lo, v11, v13, vcc_lo
	v_add_co_ci_u32_e32 v10, vcc_lo, 0, v14, vcc_lo
	v_add_co_u32 v8, vcc_lo, v9, v8
	v_add_co_ci_u32_e32 v9, vcc_lo, 0, v10, vcc_lo
	v_add_co_u32 v4, vcc_lo, v4, v8
	v_add_co_ci_u32_e32 v7, vcc_lo, v7, v9, vcc_lo
	v_mul_hi_u32 v8, s0, v4
	v_mul_lo_u32 v10, s20, v4
	v_mul_lo_u32 v9, s0, v7
	v_add_nc_u32_e32 v8, v8, v9
	v_mul_lo_u32 v9, s0, v4
	v_add_nc_u32_e32 v8, v8, v10
	v_mul_hi_u32 v10, v4, v9
	v_mul_lo_u32 v11, v4, v8
	v_mul_hi_u32 v12, v4, v8
	v_mul_hi_u32 v13, v7, v9
	v_mul_lo_u32 v9, v7, v9
	v_mul_hi_u32 v14, v7, v8
	v_mul_lo_u32 v8, v7, v8
	v_add_co_u32 v10, vcc_lo, v10, v11
	v_add_co_ci_u32_e32 v11, vcc_lo, 0, v12, vcc_lo
	v_add_co_u32 v9, vcc_lo, v10, v9
	v_add_co_ci_u32_e32 v9, vcc_lo, v11, v13, vcc_lo
	v_add_co_ci_u32_e32 v10, vcc_lo, 0, v14, vcc_lo
	v_add_co_u32 v8, vcc_lo, v9, v8
	v_add_co_ci_u32_e32 v9, vcc_lo, 0, v10, vcc_lo
	v_add_co_u32 v4, vcc_lo, v4, v8
	v_add_co_ci_u32_e32 v11, vcc_lo, v7, v9, vcc_lo
	v_mul_hi_u32 v13, v5, v4
	v_mad_u64_u32 v[9:10], null, v6, v4, 0
	v_mad_u64_u32 v[7:8], null, v5, v11, 0
	;; [unrolled: 1-line block ×3, first 2 shown]
	v_add_co_u32 v4, vcc_lo, v13, v7
	v_add_co_ci_u32_e32 v7, vcc_lo, 0, v8, vcc_lo
	v_add_co_u32 v4, vcc_lo, v4, v9
	v_add_co_ci_u32_e32 v4, vcc_lo, v7, v10, vcc_lo
	v_add_co_ci_u32_e32 v7, vcc_lo, 0, v12, vcc_lo
	v_add_co_u32 v4, vcc_lo, v4, v11
	v_add_co_ci_u32_e32 v9, vcc_lo, 0, v7, vcc_lo
	v_mul_lo_u32 v10, s19, v4
	v_mad_u64_u32 v[7:8], null, s18, v4, 0
	v_mul_lo_u32 v11, s18, v9
	v_sub_co_u32 v7, vcc_lo, v5, v7
	v_add3_u32 v8, v8, v11, v10
	v_sub_nc_u32_e32 v10, v6, v8
	v_subrev_co_ci_u32_e64 v10, s0, s19, v10, vcc_lo
	v_add_co_u32 v11, s0, v4, 2
	v_add_co_ci_u32_e64 v12, s0, 0, v9, s0
	v_sub_co_u32 v13, s0, v7, s18
	v_sub_co_ci_u32_e32 v8, vcc_lo, v6, v8, vcc_lo
	v_subrev_co_ci_u32_e64 v10, s0, 0, v10, s0
	v_cmp_le_u32_e32 vcc_lo, s18, v13
	v_cmp_eq_u32_e64 s0, s19, v8
	v_cndmask_b32_e64 v13, 0, -1, vcc_lo
	v_cmp_le_u32_e32 vcc_lo, s19, v10
	v_cndmask_b32_e64 v14, 0, -1, vcc_lo
	v_cmp_le_u32_e32 vcc_lo, s18, v7
	;; [unrolled: 2-line block ×3, first 2 shown]
	v_cndmask_b32_e64 v15, 0, -1, vcc_lo
	v_cmp_eq_u32_e32 vcc_lo, s19, v10
	v_cndmask_b32_e64 v7, v15, v7, s0
	v_cndmask_b32_e32 v10, v14, v13, vcc_lo
	v_add_co_u32 v13, vcc_lo, v4, 1
	v_add_co_ci_u32_e32 v14, vcc_lo, 0, v9, vcc_lo
	v_cmp_ne_u32_e32 vcc_lo, 0, v10
	v_cndmask_b32_e32 v8, v14, v12, vcc_lo
	v_cndmask_b32_e32 v10, v13, v11, vcc_lo
	v_cmp_ne_u32_e32 vcc_lo, 0, v7
	v_cndmask_b32_e32 v8, v9, v8, vcc_lo
	v_cndmask_b32_e32 v7, v4, v10, vcc_lo
.LBB0_4:                                ;   in Loop: Header=BB0_2 Depth=1
	s_andn2_saveexec_b32 s0, s1
	s_cbranch_execz .LBB0_6
; %bb.5:                                ;   in Loop: Header=BB0_2 Depth=1
	v_cvt_f32_u32_e32 v4, s18
	s_sub_i32 s1, 0, s18
	v_rcp_iflag_f32_e32 v4, v4
	v_mul_f32_e32 v4, 0x4f7ffffe, v4
	v_cvt_u32_f32_e32 v4, v4
	v_mul_lo_u32 v7, s1, v4
	v_mul_hi_u32 v7, v4, v7
	v_add_nc_u32_e32 v4, v4, v7
	v_mul_hi_u32 v4, v5, v4
	v_mul_lo_u32 v7, v4, s18
	v_add_nc_u32_e32 v8, 1, v4
	v_sub_nc_u32_e32 v7, v5, v7
	v_subrev_nc_u32_e32 v9, s18, v7
	v_cmp_le_u32_e32 vcc_lo, s18, v7
	v_cndmask_b32_e32 v7, v7, v9, vcc_lo
	v_cndmask_b32_e32 v4, v4, v8, vcc_lo
	v_cmp_le_u32_e32 vcc_lo, s18, v7
	v_add_nc_u32_e32 v8, 1, v4
	v_cndmask_b32_e32 v7, v4, v8, vcc_lo
	v_mov_b32_e32 v8, v3
.LBB0_6:                                ;   in Loop: Header=BB0_2 Depth=1
	s_or_b32 exec_lo, exec_lo, s0
	s_load_dwordx2 s[0:1], s[6:7], 0x0
	v_mul_lo_u32 v4, v8, s18
	v_mul_lo_u32 v11, v7, s19
	v_mad_u64_u32 v[9:10], null, v7, s18, 0
	s_add_u32 s16, s16, 1
	s_addc_u32 s17, s17, 0
	s_add_u32 s6, s6, 8
	s_addc_u32 s7, s7, 0
	;; [unrolled: 2-line block ×3, first 2 shown]
	v_add3_u32 v4, v10, v11, v4
	v_sub_co_u32 v5, vcc_lo, v5, v9
	v_sub_co_ci_u32_e32 v4, vcc_lo, v6, v4, vcc_lo
	s_waitcnt lgkmcnt(0)
	v_mul_lo_u32 v6, s1, v5
	v_mul_lo_u32 v4, s0, v4
	v_mad_u64_u32 v[1:2], null, s0, v5, v[1:2]
	v_cmp_ge_u64_e64 s0, s[16:17], s[10:11]
	s_and_b32 vcc_lo, exec_lo, s0
	v_add3_u32 v2, v6, v2, v4
	s_cbranch_vccnz .LBB0_9
; %bb.7:                                ;   in Loop: Header=BB0_2 Depth=1
	v_mov_b32_e32 v5, v7
	v_mov_b32_e32 v6, v8
	s_branch .LBB0_2
.LBB0_8:
	v_mov_b32_e32 v8, v6
	v_mov_b32_e32 v7, v5
.LBB0_9:
	s_lshl_b64 s[0:1], s[10:11], 3
	v_mul_hi_u32 v3, 0x4924925, v0
	s_add_u32 s0, s12, s0
	s_addc_u32 s1, s13, s1
	v_mov_b32_e32 v10, 0
	s_load_dwordx2 s[0:1], s[0:1], 0x0
	s_load_dwordx2 s[4:5], s[4:5], 0x20
                                        ; implicit-def: $vgpr13
                                        ; implicit-def: $vgpr21
                                        ; implicit-def: $vgpr12
                                        ; implicit-def: $vgpr9
                                        ; implicit-def: $vgpr17
                                        ; implicit-def: $vgpr23
                                        ; implicit-def: $vgpr16
                                        ; implicit-def: $vgpr15
                                        ; implicit-def: $vgpr27
                                        ; implicit-def: $vgpr24
                                        ; implicit-def: $vgpr14
                                        ; implicit-def: $vgpr18
                                        ; implicit-def: $vgpr35
                                        ; implicit-def: $vgpr25
                                        ; implicit-def: $vgpr26
                                        ; implicit-def: $vgpr19
                                        ; implicit-def: $vgpr37
                                        ; implicit-def: $vgpr28
                                        ; implicit-def: $vgpr36
                                        ; implicit-def: $vgpr20
                                        ; implicit-def: $vgpr39
                                        ; implicit-def: $vgpr29
                                        ; implicit-def: $vgpr38
                                        ; implicit-def: $vgpr22
                                        ; implicit-def: $vgpr40
                                        ; implicit-def: $vgpr30
                                        ; implicit-def: $vgpr11
                                        ; implicit-def: $vgpr31
	v_mul_u32_u24_e32 v3, 56, v3
	v_sub_nc_u32_e32 v0, v0, v3
	s_waitcnt lgkmcnt(0)
	v_mul_lo_u32 v4, s0, v8
	v_mul_lo_u32 v5, s1, v7
	v_mad_u64_u32 v[1:2], null, s0, v7, v[1:2]
	v_cmp_gt_u64_e32 vcc_lo, s[4:5], v[7:8]
                                        ; implicit-def: $vgpr7
                                        ; implicit-def: $vgpr8
	v_add3_u32 v2, v5, v2, v4
	v_lshlrev_b64 v[2:3], 2, v[1:2]
	v_mov_b32_e32 v1, 0
	s_and_saveexec_b32 s1, vcc_lo
	s_cbranch_execz .LBB0_13
; %bb.10:
	v_mov_b32_e32 v1, 0
	v_add_co_u32 v6, s0, s2, v2
	v_add_co_ci_u32_e64 v7, s0, s3, v3, s0
	v_lshlrev_b64 v[4:5], 2, v[0:1]
	v_mov_b32_e32 v10, v1
	s_mov_b32 s4, exec_lo
                                        ; implicit-def: $vgpr31
                                        ; implicit-def: $vgpr11
	v_add_co_u32 v4, s0, v6, v4
	v_add_co_ci_u32_e64 v5, s0, v7, v5, s0
	v_add_co_u32 v6, s0, 0x800, v4
	v_add_co_ci_u32_e64 v7, s0, 0, v5, s0
	s_clause 0xd
	global_load_dword v8, v[4:5], off
	global_load_dword v9, v[4:5], off offset:224
	global_load_dword v15, v[4:5], off offset:448
	;; [unrolled: 1-line block ×13, first 2 shown]
	v_cmpx_gt_u32_e32 28, v0
	s_cbranch_execz .LBB0_12
; %bb.11:
	s_clause 0x1
	global_load_dword v1, v[4:5], off offset:1568
	global_load_dword v31, v[6:7], off offset:1200
	s_waitcnt vmcnt(1)
	v_lshrrev_b32_e32 v10, 16, v1
	s_waitcnt vmcnt(0)
	v_lshrrev_b32_e32 v11, 16, v31
.LBB0_12:
	s_or_b32 exec_lo, exec_lo, s4
	s_waitcnt vmcnt(13)
	v_lshrrev_b32_e32 v7, 16, v8
	s_waitcnt vmcnt(7)
	v_lshrrev_b32_e32 v13, 16, v21
	v_lshrrev_b32_e32 v12, 16, v9
	s_waitcnt vmcnt(5)
	v_lshrrev_b32_e32 v17, 16, v23
	;; [unrolled: 3-line block ×7, first 2 shown]
.LBB0_13:
	s_or_b32 exec_lo, exec_lo, s1
	v_sub_f16_e32 v21, v8, v21
	v_sub_f16_e32 v24, v15, v24
	;; [unrolled: 1-line block ×5, first 2 shown]
	v_fma_f16 v8, v8, 2.0, -v21
	v_fma_f16 v15, v15, 2.0, -v24
	v_add_nc_u32_e32 v4, 0x70, v0
	v_fma_f16 v9, v9, 2.0, -v23
	v_add_nc_u32_e32 v5, 56, v0
	v_sub_f16_e32 v25, v18, v25
	v_fma_f16 v31, v19, 2.0, -v28
	v_fma_f16 v19, v1, 2.0, -v6
	v_lshl_add_u32 v44, v0, 2, 0
	v_pack_b32_f16 v1, v8, v21
	v_lshl_add_u32 v41, v4, 2, 0
	v_pack_b32_f16 v15, v15, v24
	v_lshl_add_u32 v45, v5, 2, 0
	v_pack_b32_f16 v8, v9, v23
	v_sub_f16_e32 v29, v20, v29
	v_sub_f16_e32 v30, v22, v30
	v_fma_f16 v18, v18, 2.0, -v25
	v_add_nc_u32_e32 v9, 0xa8, v0
	ds_write_b32 v44, v1
	ds_write_b32 v45, v8
	v_add_nc_u32_e32 v8, 0xe0, v0
	ds_write_b32 v41, v15
	v_add_nc_u32_e32 v42, 0x118, v0
	v_add_nc_u32_e32 v43, 0x150, v0
	;; [unrolled: 1-line block ×3, first 2 shown]
	v_fma_f16 v20, v20, 2.0, -v29
	v_fma_f16 v22, v22, 2.0, -v30
	v_lshl_add_u32 v46, v9, 2, 0
	v_pack_b32_f16 v1, v18, v25
	v_lshl_add_u32 v47, v8, 2, 0
	v_lshl_add_u32 v48, v42, 2, 0
	;; [unrolled: 1-line block ×3, first 2 shown]
	v_cmp_gt_u32_e64 s0, 28, v0
	v_lshl_add_u32 v49, v15, 2, 0
	v_pack_b32_f16 v18, v31, v28
	v_pack_b32_f16 v20, v20, v29
	;; [unrolled: 1-line block ×3, first 2 shown]
	ds_write_b32 v46, v1
	ds_write_b32 v47, v18
	;; [unrolled: 1-line block ×4, first 2 shown]
	s_and_saveexec_b32 s1, s0
	s_cbranch_execz .LBB0_15
; %bb.14:
	v_perm_b32 v1, v6, v19, 0x5040100
	ds_write_b32 v49, v1
.LBB0_15:
	s_or_b32 exec_lo, exec_lo, s1
	v_lshl_add_u32 v1, v0, 1, 0
	s_waitcnt lgkmcnt(0)
	s_barrier
	buffer_gl0_inv
	ds_read_u16 v28, v1
	ds_read_u16 v29, v1 offset:112
	ds_read_u16 v30, v1 offset:224
	;; [unrolled: 1-line block ×13, first 2 shown]
	s_and_saveexec_b32 s1, s0
	s_cbranch_execz .LBB0_17
; %bb.16:
	ds_read_u16 v19, v1 offset:784
	ds_read_u16 v6, v1 offset:1624
.LBB0_17:
	s_or_b32 exec_lo, exec_lo, s1
	v_sub_f16_e32 v13, v7, v13
	v_sub_f16_e32 v17, v12, v17
	;; [unrolled: 1-line block ×5, first 2 shown]
	v_fma_f16 v7, v7, 2.0, -v13
	v_fma_f16 v12, v12, 2.0, -v17
	v_sub_f16_e32 v27, v10, v11
	v_sub_f16_e32 v39, v36, v39
	;; [unrolled: 1-line block ×3, first 2 shown]
	v_fma_f16 v16, v16, 2.0, -v51
	v_pack_b32_f16 v7, v7, v13
	v_fma_f16 v11, v14, 2.0, -v35
	v_fma_f16 v14, v26, 2.0, -v37
	;; [unrolled: 1-line block ×3, first 2 shown]
	v_pack_b32_f16 v10, v12, v17
	v_fma_f16 v36, v36, 2.0, -v39
	v_fma_f16 v38, v38, 2.0, -v40
	s_waitcnt lgkmcnt(0)
	s_barrier
	buffer_gl0_inv
	ds_write_b32 v44, v7
	ds_write_b32 v45, v10
	v_pack_b32_f16 v7, v16, v51
	v_pack_b32_f16 v10, v11, v35
	;; [unrolled: 1-line block ×5, first 2 shown]
	ds_write_b32 v41, v7
	ds_write_b32 v46, v10
	;; [unrolled: 1-line block ×5, first 2 shown]
	s_and_saveexec_b32 s1, s0
	s_cbranch_execz .LBB0_19
; %bb.18:
	v_perm_b32 v7, v27, v26, 0x5040100
	ds_write_b32 v49, v7
.LBB0_19:
	s_or_b32 exec_lo, exec_lo, s1
	s_waitcnt lgkmcnt(0)
	s_barrier
	buffer_gl0_inv
	ds_read_u16 v39, v1
	ds_read_u16 v40, v1 offset:112
	ds_read_u16 v41, v1 offset:224
	;; [unrolled: 1-line block ×13, first 2 shown]
	v_lshlrev_b32_e32 v16, 1, v0
	v_lshlrev_b32_e32 v14, 1, v5
	;; [unrolled: 1-line block ×7, first 2 shown]
	s_and_saveexec_b32 s1, s0
	s_cbranch_execz .LBB0_21
; %bb.20:
	ds_read_u16 v26, v1 offset:784
	ds_read_u16 v27, v1 offset:1624
.LBB0_21:
	s_or_b32 exec_lo, exec_lo, s1
	v_and_b32_e32 v42, 1, v0
	v_lshlrev_b32_e32 v15, 1, v15
	v_lshlrev_b32_e32 v17, 2, v42
	v_and_or_b32 v43, 0xfc, v14, v42
	v_and_or_b32 v44, 0x1fc, v13, v42
	;; [unrolled: 1-line block ×4, first 2 shown]
	global_load_dword v57, v17, s[8:9]
	v_and_or_b32 v17, 0x7c, v16, v42
	v_and_or_b32 v47, 0x2fc, v10, v42
	;; [unrolled: 1-line block ×3, first 2 shown]
	v_lshl_add_u32 v63, v43, 1, 0
	v_lshl_add_u32 v62, v44, 1, 0
	v_lshl_add_u32 v64, v17, 1, 0
	v_lshl_add_u32 v61, v45, 1, 0
	v_lshl_add_u32 v60, v46, 1, 0
	v_lshl_add_u32 v59, v47, 1, 0
	v_lshl_add_u32 v58, v48, 1, 0
	s_waitcnt vmcnt(0) lgkmcnt(0)
	s_barrier
	buffer_gl0_inv
	v_mul_f16_sdwa v17, v51, v57 dst_sel:DWORD dst_unused:UNUSED_PAD src0_sel:DWORD src1_sel:WORD_1
	v_mul_f16_sdwa v49, v27, v57 dst_sel:DWORD dst_unused:UNUSED_PAD src0_sel:DWORD src1_sel:WORD_1
	;; [unrolled: 1-line block ×8, first 2 shown]
	v_fmac_f16_e32 v17, v23, v57
	v_fmac_f16_e32 v49, v6, v57
	;; [unrolled: 1-line block ×8, first 2 shown]
	v_sub_f16_e32 v65, v28, v17
	v_sub_f16_e32 v17, v19, v49
	v_sub_f16_e32 v43, v29, v43
	v_sub_f16_e32 v44, v30, v44
	v_sub_f16_e32 v45, v31, v45
	v_sub_f16_e32 v46, v32, v46
	v_sub_f16_e32 v47, v33, v47
	v_sub_f16_e32 v48, v34, v48
	v_fma_f16 v19, v19, 2.0, -v17
	v_fma_f16 v28, v28, 2.0, -v65
	;; [unrolled: 1-line block ×8, first 2 shown]
	ds_write_b16 v64, v65 offset:4
	ds_write_b16 v64, v28
	ds_write_b16 v63, v29
	ds_write_b16 v63, v43 offset:4
	ds_write_b16 v62, v30
	ds_write_b16 v62, v44 offset:4
	;; [unrolled: 2-line block ×6, first 2 shown]
	s_and_saveexec_b32 s1, s0
	s_cbranch_execz .LBB0_23
; %bb.22:
	v_and_or_b32 v28, 0x37c, v15, v42
	v_lshl_add_u32 v28, v28, 1, 0
	ds_write_b16 v28, v19
	ds_write_b16 v28, v17 offset:4
.LBB0_23:
	s_or_b32 exec_lo, exec_lo, s1
	s_waitcnt lgkmcnt(0)
	s_barrier
	buffer_gl0_inv
	ds_read_u16 v43, v1
	ds_read_u16 v44, v1 offset:112
	ds_read_u16 v45, v1 offset:224
	;; [unrolled: 1-line block ×13, first 2 shown]
	s_and_saveexec_b32 s1, s0
	s_cbranch_execz .LBB0_25
; %bb.24:
	ds_read_u16 v19, v1 offset:784
	ds_read_u16 v17, v1 offset:1624
.LBB0_25:
	s_or_b32 exec_lo, exec_lo, s1
	v_mul_f16_sdwa v23, v23, v57 dst_sel:DWORD dst_unused:UNUSED_PAD src0_sel:DWORD src1_sel:WORD_1
	v_mul_f16_sdwa v25, v25, v57 dst_sel:DWORD dst_unused:UNUSED_PAD src0_sel:DWORD src1_sel:WORD_1
	v_mul_f16_sdwa v24, v24, v57 dst_sel:DWORD dst_unused:UNUSED_PAD src0_sel:DWORD src1_sel:WORD_1
	v_mul_f16_sdwa v18, v18, v57 dst_sel:DWORD dst_unused:UNUSED_PAD src0_sel:DWORD src1_sel:WORD_1
	v_mul_f16_sdwa v6, v6, v57 dst_sel:DWORD dst_unused:UNUSED_PAD src0_sel:DWORD src1_sel:WORD_1
	v_fma_f16 v23, v51, v57, -v23
	v_fma_f16 v25, v52, v57, -v25
	;; [unrolled: 1-line block ×3, first 2 shown]
	v_mul_f16_sdwa v22, v22, v57 dst_sel:DWORD dst_unused:UNUSED_PAD src0_sel:DWORD src1_sel:WORD_1
	v_mul_f16_sdwa v21, v21, v57 dst_sel:DWORD dst_unused:UNUSED_PAD src0_sel:DWORD src1_sel:WORD_1
	;; [unrolled: 1-line block ×3, first 2 shown]
	v_sub_f16_e32 v23, v39, v23
	v_sub_f16_e32 v25, v40, v25
	;; [unrolled: 1-line block ×3, first 2 shown]
	v_fma_f16 v18, v50, v57, -v18
	v_fma_f16 v6, v27, v57, -v6
	;; [unrolled: 1-line block ×5, first 2 shown]
	v_fma_f16 v27, v39, 2.0, -v23
	v_fma_f16 v39, v40, 2.0, -v25
	;; [unrolled: 1-line block ×3, first 2 shown]
	v_sub_f16_e32 v41, v38, v18
	v_sub_f16_e32 v18, v26, v6
	;; [unrolled: 1-line block ×5, first 2 shown]
	s_waitcnt lgkmcnt(0)
	v_fma_f16 v26, v26, 2.0, -v18
	v_fma_f16 v6, v35, 2.0, -v22
	;; [unrolled: 1-line block ×5, first 2 shown]
	s_barrier
	buffer_gl0_inv
	ds_write_b16 v64, v27
	ds_write_b16 v64, v23 offset:4
	ds_write_b16 v63, v39
	ds_write_b16 v63, v25 offset:4
	;; [unrolled: 2-line block ×7, first 2 shown]
	s_and_saveexec_b32 s1, s0
	s_cbranch_execz .LBB0_27
; %bb.26:
	v_and_or_b32 v6, 0x37c, v15, v42
	v_lshl_add_u32 v6, v6, 1, 0
	ds_write_b16 v6, v26
	ds_write_b16 v6, v18 offset:4
.LBB0_27:
	s_or_b32 exec_lo, exec_lo, s1
	s_waitcnt lgkmcnt(0)
	s_barrier
	buffer_gl0_inv
	ds_read_u16 v25, v1
	ds_read_u16 v20, v1 offset:112
	ds_read_u16 v21, v1 offset:224
	ds_read_u16 v22, v1 offset:336
	ds_read_u16 v23, v1 offset:448
	ds_read_u16 v24, v1 offset:560
	ds_read_u16 v39, v1 offset:840
	ds_read_u16 v35, v1 offset:672
	ds_read_u16 v40, v1 offset:952
	ds_read_u16 v41, v1 offset:1064
	ds_read_u16 v42, v1 offset:1176
	ds_read_u16 v36, v1 offset:1288
	ds_read_u16 v37, v1 offset:1400
	ds_read_u16 v38, v1 offset:1512
	s_and_saveexec_b32 s1, s0
	s_cbranch_execz .LBB0_29
; %bb.28:
	ds_read_u16 v26, v1 offset:784
	ds_read_u16 v18, v1 offset:1624
.LBB0_29:
	s_or_b32 exec_lo, exec_lo, s1
	v_and_b32_e32 v27, 3, v0
	v_lshlrev_b32_e32 v6, 2, v27
	v_and_or_b32 v7, 0x3f8, v7, v27
	v_and_or_b32 v10, 0x2f8, v10, v27
	;; [unrolled: 1-line block ×4, first 2 shown]
	global_load_dword v50, v6, s[8:9] offset:8
	v_and_or_b32 v6, 0x78, v16, v27
	v_and_or_b32 v12, 0x1f8, v12, v27
	;; [unrolled: 1-line block ×3, first 2 shown]
	v_lshl_add_u32 v51, v7, 1, 0
	v_lshl_add_u32 v52, v10, 1, 0
	;; [unrolled: 1-line block ×7, first 2 shown]
	s_waitcnt vmcnt(0) lgkmcnt(0)
	s_barrier
	buffer_gl0_inv
	v_mul_f16_sdwa v6, v39, v50 dst_sel:DWORD dst_unused:UNUSED_PAD src0_sel:DWORD src1_sel:WORD_1
	v_mul_f16_sdwa v7, v40, v50 dst_sel:DWORD dst_unused:UNUSED_PAD src0_sel:DWORD src1_sel:WORD_1
	;; [unrolled: 1-line block ×8, first 2 shown]
	v_fmac_f16_e32 v6, v32, v50
	v_fmac_f16_e32 v7, v34, v50
	;; [unrolled: 1-line block ×8, first 2 shown]
	v_sub_f16_e32 v58, v43, v6
	v_sub_f16_e32 v7, v44, v7
	;; [unrolled: 1-line block ×8, first 2 shown]
	v_fma_f16 v16, v43, 2.0, -v58
	v_fma_f16 v43, v44, 2.0, -v7
	;; [unrolled: 1-line block ×7, first 2 shown]
	ds_write_b16 v57, v58 offset:8
	ds_write_b16 v57, v16
	ds_write_b16 v56, v43
	ds_write_b16 v56, v7 offset:8
	ds_write_b16 v55, v44
	ds_write_b16 v55, v10 offset:8
	ds_write_b16 v54, v45
	ds_write_b16 v54, v11 offset:8
	ds_write_b16 v53, v46
	ds_write_b16 v53, v12 offset:8
	ds_write_b16 v52, v47
	ds_write_b16 v52, v13 offset:8
	ds_write_b16 v51, v48
	ds_write_b16 v51, v14 offset:8
	s_and_saveexec_b32 s1, s0
	s_cbranch_execz .LBB0_31
; %bb.30:
	v_and_or_b32 v7, 0x378, v15, v27
	v_fma_f16 v10, v19, 2.0, -v6
	v_lshl_add_u32 v7, v7, 1, 0
	ds_write_b16 v7, v10
	ds_write_b16 v7, v6 offset:8
.LBB0_31:
	s_or_b32 exec_lo, exec_lo, s1
	v_mul_f16_sdwa v7, v32, v50 dst_sel:DWORD dst_unused:UNUSED_PAD src0_sel:DWORD src1_sel:WORD_1
	v_mul_f16_sdwa v10, v34, v50 dst_sel:DWORD dst_unused:UNUSED_PAD src0_sel:DWORD src1_sel:WORD_1
	;; [unrolled: 1-line block ×5, first 2 shown]
	v_fma_f16 v7, v39, v50, -v7
	v_mul_f16_sdwa v14, v29, v50 dst_sel:DWORD dst_unused:UNUSED_PAD src0_sel:DWORD src1_sel:WORD_1
	v_fma_f16 v10, v40, v50, -v10
	v_fma_f16 v11, v41, v50, -v11
	;; [unrolled: 1-line block ×3, first 2 shown]
	v_mul_f16_sdwa v16, v28, v50 dst_sel:DWORD dst_unused:UNUSED_PAD src0_sel:DWORD src1_sel:WORD_1
	v_sub_f16_e32 v28, v25, v7
	v_fma_f16 v7, v36, v50, -v13
	v_fma_f16 v13, v37, v50, -v14
	v_mul_f16_sdwa v17, v17, v50 dst_sel:DWORD dst_unused:UNUSED_PAD src0_sel:DWORD src1_sel:WORD_1
	v_fma_f16 v14, v38, v50, -v16
	v_sub_f16_e32 v31, v20, v10
	v_sub_f16_e32 v32, v21, v11
	;; [unrolled: 1-line block ×5, first 2 shown]
	v_fma_f16 v29, v18, v50, -v17
	v_fma_f16 v30, v25, 2.0, -v28
	v_fma_f16 v37, v20, 2.0, -v31
	;; [unrolled: 1-line block ×6, first 2 shown]
	v_sub_f16_e32 v42, v35, v14
	s_waitcnt lgkmcnt(0)
	s_barrier
	buffer_gl0_inv
	ds_read_u16 v17, v1 offset:672
	ds_read_u16 v16, v1 offset:784
	ds_read_u16 v14, v1
	ds_read_u16 v13, v1 offset:112
	ds_read_u16 v11, v1 offset:224
	;; [unrolled: 1-line block ×12, first 2 shown]
	v_sub_f16_e32 v7, v26, v29
	v_fma_f16 v35, v35, 2.0, -v42
	s_waitcnt lgkmcnt(0)
	s_barrier
	buffer_gl0_inv
	ds_write_b16 v57, v30
	ds_write_b16 v57, v28 offset:8
	ds_write_b16 v56, v37
	ds_write_b16 v56, v31 offset:8
	;; [unrolled: 2-line block ×7, first 2 shown]
	s_and_saveexec_b32 s1, s0
	s_cbranch_execz .LBB0_33
; %bb.32:
	v_and_or_b32 v15, 0x378, v15, v27
	v_fma_f16 v26, v26, 2.0, -v7
	v_lshl_add_u32 v15, v15, 1, 0
	ds_write_b16 v15, v26
	ds_write_b16 v15, v7 offset:8
.LBB0_33:
	s_or_b32 exec_lo, exec_lo, s1
	v_and_b32_e32 v15, 7, v0
	s_waitcnt lgkmcnt(0)
	s_barrier
	buffer_gl0_inv
	v_lshrrev_b32_e32 v43, 3, v0
	v_lshlrev_b32_e32 v26, 3, v15
	v_lshrrev_b32_e32 v44, 3, v5
	v_lshrrev_b32_e32 v45, 3, v4
	;; [unrolled: 1-line block ×4, first 2 shown]
	global_load_dwordx2 v[26:27], v26, s[8:9] offset:24
	ds_read_u16 v28, v1 offset:672
	ds_read_u16 v29, v1 offset:784
	ds_read_u16 v30, v1
	ds_read_u16 v31, v1 offset:112
	ds_read_u16 v32, v1 offset:224
	;; [unrolled: 1-line block ×12, first 2 shown]
	v_and_b32_e32 v46, 0xff, v0
	v_and_b32_e32 v48, 0xff, v5
	;; [unrolled: 1-line block ×3, first 2 shown]
	v_mul_u32_u24_e32 v43, 24, v43
	v_mul_u32_u24_e32 v44, 24, v44
	;; [unrolled: 1-line block ×5, first 2 shown]
	v_mul_lo_u16 v46, 0xab, v46
	v_mul_lo_u16 v48, 0xab, v48
	;; [unrolled: 1-line block ×3, first 2 shown]
	v_or_b32_e32 v43, v43, v15
	v_or_b32_e32 v44, v44, v15
	v_lshrrev_b16 v46, 12, v46
	v_or_b32_e32 v45, v45, v15
	v_or_b32_e32 v9, v9, v15
	;; [unrolled: 1-line block ×3, first 2 shown]
	v_lshrrev_b16 v15, 12, v48
	v_mul_lo_u16 v48, v46, 24
	v_lshrrev_b16 v49, 12, v49
	v_lshl_add_u32 v43, v43, 1, 0
	v_lshl_add_u32 v44, v44, 1, 0
	v_mul_lo_u16 v50, v15, 24
	v_mov_b32_e32 v47, 4
	s_waitcnt vmcnt(0) lgkmcnt(0)
	s_barrier
	buffer_gl0_inv
	v_sub_nc_u16 v48, v0, v48
	v_lshl_add_u32 v45, v45, 1, 0
	v_lshl_add_u32 v9, v9, 1, 0
	;; [unrolled: 1-line block ×3, first 2 shown]
	v_sub_nc_u16 v50, v5, v50
	v_lshlrev_b32_sdwa v51, v47, v48 dst_sel:DWORD dst_unused:UNUSED_PAD src0_sel:DWORD src1_sel:BYTE_0
	v_cmp_gt_u32_e64 s0, 8, v0
	v_mul_f16_sdwa v52, v35, v26 dst_sel:DWORD dst_unused:UNUSED_PAD src0_sel:DWORD src1_sel:WORD_1
	v_mul_f16_sdwa v54, v41, v27 dst_sel:DWORD dst_unused:UNUSED_PAD src0_sel:DWORD src1_sel:WORD_1
	;; [unrolled: 1-line block ×17, first 2 shown]
	v_fmac_f16_e32 v52, v24, v26
	v_fmac_f16_e32 v54, v25, v27
	v_mul_f16_sdwa v57, v17, v26 dst_sel:DWORD dst_unused:UNUSED_PAD src0_sel:DWORD src1_sel:WORD_1
	v_mul_f16_sdwa v61, v16, v26 dst_sel:DWORD dst_unused:UNUSED_PAD src0_sel:DWORD src1_sel:WORD_1
	v_fmac_f16_e32 v56, v17, v26
	v_fmac_f16_e32 v58, v23, v27
	v_mul_f16_sdwa v65, v18, v26 dst_sel:DWORD dst_unused:UNUSED_PAD src0_sel:DWORD src1_sel:WORD_1
	v_fma_f16 v24, v35, v26, -v53
	v_fma_f16 v25, v41, v27, -v55
	v_fmac_f16_e32 v60, v16, v26
	v_fmac_f16_e32 v62, v22, v27
	;; [unrolled: 1-line block ×6, first 2 shown]
	v_fma_f16 v23, v37, v27, -v59
	v_fma_f16 v22, v38, v27, -v63
	;; [unrolled: 1-line block ×5, first 2 shown]
	v_add_f16_e32 v27, v52, v54
	v_fma_f16 v17, v28, v26, -v57
	v_fma_f16 v16, v29, v26, -v61
	v_add_f16_e32 v37, v56, v58
	v_fma_f16 v18, v34, v26, -v65
	v_add_f16_e32 v26, v14, v52
	v_sub_f16_e32 v28, v24, v25
	v_add_f16_e32 v29, v30, v24
	v_add_f16_e32 v24, v24, v25
	;; [unrolled: 1-line block ×3, first 2 shown]
	v_sub_f16_e32 v40, v56, v58
	v_add_f16_e32 v42, v60, v62
	v_add_f16_e32 v56, v10, v64
	;; [unrolled: 1-line block ×3, first 2 shown]
	v_sub_f16_e32 v61, v64, v66
	v_add_f16_e32 v64, v68, v70
	v_sub_f16_e32 v65, v21, v19
	v_add_f16_e32 v67, v36, v21
	v_add_f16_e32 v21, v21, v19
	v_fmac_f16_e32 v14, -0.5, v27
	v_sub_f16_e32 v34, v52, v54
	v_sub_f16_e32 v38, v17, v23
	;; [unrolled: 1-line block ×3, first 2 shown]
	v_add_f16_e32 v53, v32, v16
	v_add_f16_e32 v16, v16, v22
	v_fmac_f16_e32 v13, -0.5, v37
	v_add_f16_e32 v39, v31, v17
	v_add_f16_e32 v17, v17, v23
	;; [unrolled: 1-line block ×3, first 2 shown]
	v_sub_f16_e32 v55, v60, v62
	v_sub_f16_e32 v59, v18, v20
	v_add_f16_e32 v60, v33, v18
	v_add_f16_e32 v18, v18, v20
	;; [unrolled: 1-line block ×4, first 2 shown]
	v_fmac_f16_e32 v30, -0.5, v24
	v_fmac_f16_e32 v11, -0.5, v42
	v_fmac_f16_e32 v10, -0.5, v57
	v_fmac_f16_e32 v12, -0.5, v64
	v_fmac_f16_e32 v36, -0.5, v21
	v_fmamk_f16 v21, v28, 0xbaee, v14
	v_fmac_f16_e32 v14, 0x3aee, v28
	v_add_f16_e32 v24, v35, v58
	v_fmac_f16_e32 v32, -0.5, v16
	v_add_f16_e32 v16, v56, v66
	v_fmamk_f16 v28, v38, 0xbaee, v13
	v_add_f16_e32 v23, v39, v23
	v_fmac_f16_e32 v31, -0.5, v17
	v_add_f16_e32 v17, v41, v62
	v_fmac_f16_e32 v33, -0.5, v18
	v_add_f16_e32 v18, v63, v70
	v_fmamk_f16 v27, v34, 0x3aee, v30
	v_fmac_f16_e32 v30, 0xbaee, v34
	v_fmac_f16_e32 v13, 0x3aee, v38
	v_fmamk_f16 v34, v52, 0xbaee, v11
	v_fmac_f16_e32 v11, 0x3aee, v52
	v_fmamk_f16 v37, v59, 0xbaee, v10
	;; [unrolled: 2-line block ×3, first 2 shown]
	v_fmac_f16_e32 v12, 0x3aee, v65
	ds_write_b16 v43, v26
	ds_write_b16 v43, v21 offset:16
	ds_write_b16 v43, v14 offset:32
	ds_write_b16 v44, v24
	ds_write_b16 v44, v28 offset:16
	ds_write_b16 v44, v13 offset:32
	;; [unrolled: 3-line block ×5, first 2 shown]
	v_mul_lo_u16 v16, v49, 24
	v_sub_f16_e32 v68, v68, v70
	v_add_f16_e32 v25, v29, v25
	v_lshlrev_b32_sdwa v17, v47, v50 dst_sel:DWORD dst_unused:UNUSED_PAD src0_sel:DWORD src1_sel:BYTE_0
	v_add_f16_e32 v22, v53, v22
	v_sub_nc_u16 v16, v4, v16
	v_fmamk_f16 v29, v40, 0x3aee, v31
	v_add_f16_e32 v20, v60, v20
	v_add_f16_e32 v19, v67, v19
	v_fmac_f16_e32 v31, 0xbaee, v40
	v_fmamk_f16 v35, v55, 0x3aee, v32
	v_fmac_f16_e32 v32, 0xbaee, v55
	v_fmamk_f16 v38, v61, 0x3aee, v33
	;; [unrolled: 2-line block ×3, first 2 shown]
	v_fmac_f16_e32 v36, 0xbaee, v68
	s_waitcnt lgkmcnt(0)
	s_barrier
	buffer_gl0_inv
	ds_read_u16 v12, v1
	ds_read_u16 v13, v1 offset:112
	ds_read_u16 v14, v1 offset:448
	;; [unrolled: 1-line block ×14, first 2 shown]
	s_waitcnt lgkmcnt(0)
	s_barrier
	buffer_gl0_inv
	ds_write_b16 v43, v25
	ds_write_b16 v43, v27 offset:16
	ds_write_b16 v43, v30 offset:32
	ds_write_b16 v44, v23
	ds_write_b16 v44, v29 offset:16
	ds_write_b16 v44, v31 offset:32
	;; [unrolled: 3-line block ×5, first 2 shown]
	s_waitcnt lgkmcnt(0)
	s_barrier
	buffer_gl0_inv
	s_clause 0x1
	global_load_dwordx4 v[8:11], v51, s[8:9] offset:88
	global_load_dwordx4 v[21:24], v17, s[8:9] offset:88
	v_lshlrev_b32_sdwa v17, v47, v16 dst_sel:DWORD dst_unused:UNUSED_PAD src0_sel:DWORD src1_sel:BYTE_0
	v_mov_b32_e32 v18, 1
	global_load_dwordx4 v[25:28], v17, s[8:9] offset:88
	v_mov_b32_e32 v17, 0xf0
	v_lshlrev_b32_sdwa v20, v18, v48 dst_sel:DWORD dst_unused:UNUSED_PAD src0_sel:DWORD src1_sel:BYTE_0
	v_lshlrev_b32_sdwa v29, v18, v50 dst_sel:DWORD dst_unused:UNUSED_PAD src0_sel:DWORD src1_sel:BYTE_0
	;; [unrolled: 1-line block ×3, first 2 shown]
	v_mul_u32_u24_sdwa v19, v46, v17 dst_sel:DWORD dst_unused:UNUSED_PAD src0_sel:WORD_0 src1_sel:DWORD
	v_mul_u32_u24_sdwa v15, v15, v17 dst_sel:DWORD dst_unused:UNUSED_PAD src0_sel:WORD_0 src1_sel:DWORD
	;; [unrolled: 1-line block ×3, first 2 shown]
	v_add3_u32 v17, 0, v19, v20
	ds_read_u16 v19, v1 offset:336
	v_add3_u32 v16, 0, v15, v29
	ds_read_u16 v29, v1 offset:672
	;; [unrolled: 2-line block ×3, first 2 shown]
	ds_read_u16 v31, v1 offset:1344
	ds_read_u16 v34, v1
	ds_read_u16 v18, v1 offset:112
	ds_read_u16 v32, v1 offset:448
	;; [unrolled: 1-line block ×10, first 2 shown]
	s_waitcnt vmcnt(0) lgkmcnt(0)
	s_barrier
	buffer_gl0_inv
	v_mul_f16_sdwa v53, v29, v9 dst_sel:DWORD dst_unused:UNUSED_PAD src0_sel:DWORD src1_sel:WORD_1
	v_mul_f16_sdwa v55, v30, v10 dst_sel:DWORD dst_unused:UNUSED_PAD src0_sel:DWORD src1_sel:WORD_1
	;; [unrolled: 1-line block ×15, first 2 shown]
	v_fmac_f16_e32 v53, v56, v9
	v_fmac_f16_e32 v55, v64, v10
	v_mul_f16_sdwa v50, v64, v10 dst_sel:DWORD dst_unused:UNUSED_PAD src0_sel:DWORD src1_sel:WORD_1
	v_mul_f16_sdwa v70, v37, v22 dst_sel:DWORD dst_unused:UNUSED_PAD src0_sel:DWORD src1_sel:WORD_1
	v_fmac_f16_e32 v52, v54, v8
	v_fmac_f16_e32 v57, v62, v11
	v_mul_f16_sdwa v69, v14, v21 dst_sel:DWORD dst_unused:UNUSED_PAD src0_sel:DWORD src1_sel:WORD_1
	v_mul_f16_sdwa v71, v39, v23 dst_sel:DWORD dst_unused:UNUSED_PAD src0_sel:DWORD src1_sel:WORD_1
	;; [unrolled: 1-line block ×4, first 2 shown]
	v_fmac_f16_e32 v46, v37, v22
	v_fmac_f16_e32 v47, v39, v23
	v_mul_f16_sdwa v73, v58, v25 dst_sel:DWORD dst_unused:UNUSED_PAD src0_sel:DWORD src1_sel:WORD_1
	v_mul_f16_sdwa v75, v63, v27 dst_sel:DWORD dst_unused:UNUSED_PAD src0_sel:DWORD src1_sel:WORD_1
	;; [unrolled: 1-line block ×3, first 2 shown]
	v_fmac_f16_e32 v48, v14, v21
	v_fmac_f16_e32 v49, v60, v24
	;; [unrolled: 1-line block ×6, first 2 shown]
	v_fma_f16 v54, v19, v8, -v43
	v_fma_f16 v56, v29, v9, -v44
	v_fma_f16 v51, v31, v11, -v51
	v_add_f16_e32 v9, v53, v55
	v_fma_f16 v50, v30, v10, -v50
	v_fma_f16 v43, v33, v22, -v70
	v_add_f16_e32 v22, v52, v57
	v_fma_f16 v14, v32, v21, -v69
	v_fma_f16 v44, v38, v23, -v71
	;; [unrolled: 1-line block ×4, first 2 shown]
	v_sub_f16_e32 v19, v52, v53
	v_sub_f16_e32 v21, v57, v55
	;; [unrolled: 1-line block ×4, first 2 shown]
	v_add_f16_e32 v26, v46, v47
	v_fma_f16 v38, v40, v25, -v73
	v_fma_f16 v40, v67, v27, -v75
	v_fma_f16 v37, v66, v28, -v76
	v_add_f16_e32 v8, v12, v52
	v_add_f16_e32 v31, v48, v49
	;; [unrolled: 1-line block ×4, first 2 shown]
	v_sub_f16_e32 v10, v54, v51
	v_add_f16_e32 v25, v13, v48
	v_sub_f16_e32 v32, v46, v48
	v_sub_f16_e32 v33, v47, v49
	v_fma_f16 v9, -0.5, v9, v12
	v_sub_f16_e32 v11, v56, v50
	v_fmac_f16_e32 v12, -0.5, v22
	v_sub_f16_e32 v27, v14, v45
	v_add_f16_e32 v58, v59, v41
	v_add_f16_e32 v19, v19, v21
	;; [unrolled: 1-line block ×3, first 2 shown]
	v_fma_f16 v23, -0.5, v26, v13
	v_sub_f16_e32 v28, v43, v44
	v_sub_f16_e32 v29, v48, v46
	;; [unrolled: 1-line block ×7, first 2 shown]
	v_add_f16_e32 v68, v8, v53
	v_fmac_f16_e32 v13, -0.5, v31
	v_fma_f16 v8, -0.5, v60, v59
	v_fmac_f16_e32 v59, -0.5, v65
	v_add_f16_e32 v22, v25, v46
	v_add_f16_e32 v25, v32, v33
	v_fmamk_f16 v32, v10, 0xbb9c, v9
	v_fmamk_f16 v33, v11, 0x3b9c, v12
	v_fmac_f16_e32 v12, 0xbb9c, v11
	v_add_f16_e32 v26, v58, v35
	v_fmac_f16_e32 v9, 0x3b9c, v10
	v_fmamk_f16 v58, v27, 0xbb9c, v23
	v_fmac_f16_e32 v23, 0x3b9c, v27
	v_sub_f16_e32 v66, v35, v41
	v_sub_f16_e32 v67, v36, v42
	v_add_f16_e32 v24, v29, v30
	v_add_f16_e32 v29, v63, v64
	;; [unrolled: 1-line block ×3, first 2 shown]
	v_fmamk_f16 v60, v28, 0x3b9c, v13
	v_fmac_f16_e32 v13, 0xbb9c, v28
	v_fmamk_f16 v63, v61, 0xbb9c, v8
	v_fmac_f16_e32 v8, 0x3b9c, v61
	v_fmamk_f16 v64, v62, 0x3b9c, v59
	v_fmac_f16_e32 v59, 0xbb9c, v62
	v_fmac_f16_e32 v32, 0xb8b4, v11
	v_fmac_f16_e32 v33, 0xb8b4, v10
	v_fmac_f16_e32 v12, 0x38b4, v10
	v_fmac_f16_e32 v9, 0x38b4, v11
	v_fmac_f16_e32 v23, 0x38b4, v28
	v_add_f16_e32 v30, v66, v67
	v_add_f16_e32 v22, v22, v47
	;; [unrolled: 1-line block ×4, first 2 shown]
	v_fmac_f16_e32 v58, 0xb8b4, v28
	v_fmac_f16_e32 v60, 0xb8b4, v27
	;; [unrolled: 1-line block ×12, first 2 shown]
	v_add_f16_e32 v10, v22, v49
	v_add_f16_e32 v11, v26, v42
	v_fmac_f16_e32 v58, 0x34f2, v24
	v_fmac_f16_e32 v60, 0x34f2, v25
	;; [unrolled: 1-line block ×7, first 2 shown]
	ds_write_b16 v17, v31
	ds_write_b16 v17, v32 offset:48
	ds_write_b16 v17, v33 offset:96
	ds_write_b16 v17, v12 offset:144
	ds_write_b16 v17, v9 offset:192
	ds_write_b16 v16, v10
	ds_write_b16 v16, v58 offset:48
	ds_write_b16 v16, v60 offset:96
	ds_write_b16 v16, v13 offset:144
	ds_write_b16 v16, v23 offset:192
	;; [unrolled: 5-line block ×3, first 2 shown]
	s_waitcnt lgkmcnt(0)
	s_barrier
	buffer_gl0_inv
	ds_read_u16 v19, v1
	ds_read_u16 v22, v1 offset:960
	ds_read_u16 v28, v1 offset:832
	;; [unrolled: 1-line block ×13, first 2 shown]
                                        ; implicit-def: $vgpr11
                                        ; implicit-def: $vgpr10
                                        ; implicit-def: $vgpr12
                                        ; implicit-def: $vgpr9
                                        ; implicit-def: $vgpr13
	s_and_saveexec_b32 s1, s0
	s_cbranch_execz .LBB0_35
; %bb.34:
	ds_read_u16 v8, v1 offset:224
	ds_read_u16 v6, v1 offset:464
	;; [unrolled: 1-line block ×7, first 2 shown]
.LBB0_35:
	s_or_b32 exec_lo, exec_lo, s1
	v_add_f16_e32 v58, v56, v50
	v_add_f16_e32 v59, v34, v54
	v_sub_f16_e32 v52, v52, v57
	v_sub_f16_e32 v53, v53, v55
	;; [unrolled: 1-line block ×3, first 2 shown]
	v_fma_f16 v57, -0.5, v58, v34
	v_sub_f16_e32 v58, v51, v50
	v_add_f16_e32 v60, v54, v51
	v_add_f16_e32 v59, v59, v56
	v_sub_f16_e32 v54, v56, v54
	v_fmamk_f16 v56, v52, 0x3b9c, v57
	v_add_f16_e32 v55, v55, v58
	v_fmac_f16_e32 v34, -0.5, v60
	v_add_f16_e32 v58, v59, v50
	v_fmac_f16_e32 v57, 0xbb9c, v52
	v_fmac_f16_e32 v56, 0x38b4, v53
	v_sub_f16_e32 v50, v50, v51
	v_fmamk_f16 v59, v53, 0xbb9c, v34
	v_add_f16_e32 v51, v58, v51
	v_fmac_f16_e32 v57, 0xb8b4, v53
	v_add_f16_e32 v58, v43, v44
	v_fmac_f16_e32 v34, 0x3b9c, v53
	v_add_f16_e32 v53, v18, v14
	v_add_f16_e32 v50, v54, v50
	v_sub_f16_e32 v48, v48, v49
	v_fma_f16 v54, -0.5, v58, v18
	v_fmac_f16_e32 v56, 0x34f2, v55
	v_add_f16_e32 v49, v53, v43
	v_fmac_f16_e32 v59, 0x38b4, v52
	v_fmac_f16_e32 v57, 0x34f2, v55
	v_fmac_f16_e32 v34, 0xb8b4, v52
	v_fmamk_f16 v52, v48, 0x3b9c, v54
	v_sub_f16_e32 v46, v46, v47
	v_sub_f16_e32 v47, v14, v43
	;; [unrolled: 1-line block ×3, first 2 shown]
	v_fmac_f16_e32 v54, 0xbb9c, v48
	v_add_f16_e32 v55, v14, v45
	v_add_f16_e32 v49, v49, v44
	v_fmac_f16_e32 v52, 0x38b4, v46
	v_add_f16_e32 v47, v47, v53
	v_fmac_f16_e32 v54, 0xb8b4, v46
	v_fmac_f16_e32 v18, -0.5, v55
	v_add_f16_e32 v49, v49, v45
	v_sub_f16_e32 v43, v43, v14
	v_sub_f16_e32 v44, v44, v45
	v_add_f16_e32 v45, v20, v38
	v_fmac_f16_e32 v59, 0x34f2, v50
	v_fmac_f16_e32 v34, 0x34f2, v50
	;; [unrolled: 1-line block ×4, first 2 shown]
	v_fmamk_f16 v47, v46, 0xbb9c, v18
	v_add_f16_e32 v50, v39, v40
	v_fmac_f16_e32 v18, 0x3b9c, v46
	v_sub_f16_e32 v41, v41, v42
	v_add_f16_e32 v42, v43, v44
	v_add_f16_e32 v43, v45, v39
	;; [unrolled: 1-line block ×3, first 2 shown]
	v_fma_f16 v14, -0.5, v50, v20
	v_fmac_f16_e32 v47, 0x38b4, v48
	v_fmac_f16_e32 v18, 0xb8b4, v48
	v_sub_f16_e32 v35, v35, v36
	v_fmac_f16_e32 v20, -0.5, v45
	v_fmamk_f16 v44, v41, 0x3b9c, v14
	v_fmac_f16_e32 v47, 0x34f2, v42
	v_fmac_f16_e32 v18, 0x34f2, v42
	v_add_f16_e32 v36, v43, v40
	v_sub_f16_e32 v42, v38, v39
	v_sub_f16_e32 v43, v37, v40
	v_fmac_f16_e32 v14, 0xbb9c, v41
	v_fmamk_f16 v45, v35, 0xbb9c, v20
	v_sub_f16_e32 v38, v39, v38
	v_sub_f16_e32 v39, v40, v37
	v_fmac_f16_e32 v20, 0x3b9c, v35
	v_fmac_f16_e32 v44, 0x38b4, v35
	v_add_f16_e32 v40, v42, v43
	v_fmac_f16_e32 v14, 0xb8b4, v35
	v_fmac_f16_e32 v45, 0x38b4, v41
	v_add_f16_e32 v35, v38, v39
	;; [unrolled: 3-line block ×3, first 2 shown]
	v_fmac_f16_e32 v14, 0x34f2, v40
	v_fmac_f16_e32 v45, 0x34f2, v35
	;; [unrolled: 1-line block ×3, first 2 shown]
	s_waitcnt lgkmcnt(0)
	s_barrier
	buffer_gl0_inv
	ds_write_b16 v17, v51
	ds_write_b16 v17, v56 offset:48
	ds_write_b16 v17, v59 offset:96
	ds_write_b16 v17, v34 offset:144
	ds_write_b16 v17, v57 offset:192
	ds_write_b16 v16, v49
	ds_write_b16 v16, v52 offset:48
	ds_write_b16 v16, v47 offset:96
	ds_write_b16 v16, v18 offset:144
	ds_write_b16 v16, v54 offset:192
	;; [unrolled: 5-line block ×3, first 2 shown]
	s_waitcnt lgkmcnt(0)
	s_barrier
	buffer_gl0_inv
	ds_read_u16 v34, v1
	ds_read_u16 v37, v1 offset:960
	ds_read_u16 v44, v1 offset:832
	;; [unrolled: 1-line block ×13, first 2 shown]
                                        ; implicit-def: $vgpr17
                                        ; implicit-def: $vgpr15
                                        ; implicit-def: $vgpr18
                                        ; implicit-def: $vgpr16
                                        ; implicit-def: $vgpr20
	s_and_saveexec_b32 s1, s0
	s_cbranch_execz .LBB0_37
; %bb.36:
	ds_read_u16 v14, v1 offset:224
	ds_read_u16 v7, v1 offset:464
	;; [unrolled: 1-line block ×7, first 2 shown]
.LBB0_37:
	s_or_b32 exec_lo, exec_lo, s1
	s_and_saveexec_b32 s1, vcc_lo
	s_cbranch_execz .LBB0_40
; %bb.38:
	v_mul_u32_u24_e32 v1, 6, v5
	v_mul_hi_u32 v5, 0x88888889, v5
	v_lshlrev_b32_e32 v1, 2, v1
	s_clause 0x1
	global_load_dwordx4 v[49:52], v1, s[8:9] offset:472
	global_load_dwordx2 v[57:58], v1, s[8:9] offset:488
	v_mul_u32_u24_e32 v1, 6, v0
	v_lshrrev_b32_e32 v5, 6, v5
	v_lshlrev_b32_e32 v1, 2, v1
	v_mul_u32_u24_e32 v63, 0x2d0, v5
	v_add_co_u32 v5, vcc_lo, s2, v2
	s_clause 0x1
	global_load_dwordx4 v[53:56], v1, s[8:9] offset:472
	global_load_dwordx2 v[59:60], v1, s[8:9] offset:488
	v_mov_b32_e32 v1, 0
	v_add_co_ci_u32_e32 v36, vcc_lo, s3, v3, vcc_lo
	v_lshlrev_b64 v[61:62], 2, v[0:1]
	v_mov_b32_e32 v64, v1
	v_lshlrev_b64 v[63:64], 2, v[63:64]
	v_add_co_u32 v2, vcc_lo, v5, v61
	v_add_co_ci_u32_e32 v3, vcc_lo, v36, v62, vcc_lo
	v_add_co_u32 v61, vcc_lo, v2, v63
	v_add_co_ci_u32_e32 v62, vcc_lo, v3, v64, vcc_lo
	;; [unrolled: 2-line block ×5, first 2 shown]
	s_waitcnt vmcnt(3) lgkmcnt(7)
	v_mul_f16_sdwa v69, v45, v49 dst_sel:DWORD dst_unused:UNUSED_PAD src0_sel:DWORD src1_sel:WORD_1
	s_waitcnt vmcnt(2) lgkmcnt(4)
	v_mul_f16_sdwa v70, v47, v58 dst_sel:DWORD dst_unused:UNUSED_PAD src0_sel:DWORD src1_sel:WORD_1
	s_waitcnt lgkmcnt(0)
	v_mul_f16_sdwa v71, v48, v52 dst_sel:DWORD dst_unused:UNUSED_PAD src0_sel:DWORD src1_sel:WORD_1
	v_mul_f16_sdwa v72, v44, v51 dst_sel:DWORD dst_unused:UNUSED_PAD src0_sel:DWORD src1_sel:WORD_1
	;; [unrolled: 1-line block ×10, first 2 shown]
	s_waitcnt vmcnt(1)
	v_mul_f16_sdwa v81, v40, v53 dst_sel:DWORD dst_unused:UNUSED_PAD src0_sel:DWORD src1_sel:WORD_1
	s_waitcnt vmcnt(0)
	v_mul_f16_sdwa v82, v43, v60 dst_sel:DWORD dst_unused:UNUSED_PAD src0_sel:DWORD src1_sel:WORD_1
	v_mul_f16_sdwa v83, v37, v56 dst_sel:DWORD dst_unused:UNUSED_PAD src0_sel:DWORD src1_sel:WORD_1
	;; [unrolled: 1-line block ×11, first 2 shown]
	v_fmac_f16_e32 v69, v30, v49
	v_fmac_f16_e32 v70, v32, v58
	;; [unrolled: 1-line block ×6, first 2 shown]
	v_fma_f16 v28, v47, v58, -v75
	v_fma_f16 v29, v45, v49, -v76
	;; [unrolled: 1-line block ×6, first 2 shown]
	v_fmac_f16_e32 v81, v25, v53
	v_fmac_f16_e32 v82, v27, v60
	;; [unrolled: 1-line block ×6, first 2 shown]
	v_fma_f16 v22, v43, v60, -v87
	v_fma_f16 v23, v40, v53, -v88
	;; [unrolled: 1-line block ×6, first 2 shown]
	v_sub_f16_e32 v37, v69, v70
	v_sub_f16_e32 v38, v71, v72
	;; [unrolled: 1-line block ×3, first 2 shown]
	v_add_f16_e32 v40, v29, v28
	v_add_f16_e32 v41, v31, v30
	;; [unrolled: 1-line block ×6, first 2 shown]
	v_sub_f16_e32 v28, v29, v28
	v_sub_f16_e32 v29, v31, v30
	;; [unrolled: 1-line block ×3, first 2 shown]
	v_add_f16_e32 v46, v23, v22
	v_add_f16_e32 v48, v27, v26
	;; [unrolled: 1-line block ×4, first 2 shown]
	v_sub_f16_e32 v31, v81, v82
	v_sub_f16_e32 v32, v83, v84
	;; [unrolled: 1-line block ×3, first 2 shown]
	v_add_f16_e32 v47, v25, v24
	v_add_f16_e32 v50, v83, v84
	v_sub_f16_e32 v22, v23, v22
	v_sub_f16_e32 v23, v25, v24
	;; [unrolled: 1-line block ×5, first 2 shown]
	v_add_f16_e32 v27, v38, v39
	v_sub_f16_e32 v38, v40, v41
	v_sub_f16_e32 v52, v41, v42
	v_add_f16_e32 v53, v40, v42
	v_sub_f16_e32 v54, v43, v44
	v_sub_f16_e32 v55, v44, v45
	;; [unrolled: 3-line block ×4, first 2 shown]
	v_add_f16_e32 v69, v46, v48
	v_add_f16_e32 v72, v49, v51
	v_sub_f16_e32 v40, v42, v40
	v_sub_f16_e32 v42, v45, v43
	;; [unrolled: 1-line block ×4, first 2 shown]
	v_add_f16_e32 v32, v32, v33
	v_sub_f16_e32 v59, v46, v47
	v_sub_f16_e32 v60, v47, v48
	;; [unrolled: 1-line block ×6, first 2 shown]
	v_add_f16_e32 v23, v23, v24
	v_sub_f16_e32 v33, v33, v31
	v_sub_f16_e32 v46, v48, v46
	;; [unrolled: 1-line block ×4, first 2 shown]
	v_mul_f16_e32 v26, 0x3846, v26
	v_add_f16_e32 v27, v37, v27
	v_mul_f16_e32 v37, 0x3a52, v38
	v_mul_f16_e32 v49, 0x2b26, v52
	v_add_f16_e32 v41, v41, v53
	v_mul_f16_e32 v51, 0x3a52, v54
	;; [unrolled: 3-line block ×3, first 2 shown]
	v_add_f16_e32 v28, v28, v29
	v_mul_f16_e32 v29, 0xbb00, v39
	v_mul_f16_e32 v55, 0xbb00, v30
	v_add_f16_e32 v47, v47, v69
	v_add_f16_e32 v50, v50, v72
	v_mul_f16_e32 v45, 0x3846, v45
	v_add_f16_e32 v31, v31, v32
	v_mul_f16_e32 v32, 0x3a52, v59
	v_mul_f16_e32 v56, 0x2b26, v60
	;; [unrolled: 1-line block ×4, first 2 shown]
	v_add_f16_e32 v22, v22, v23
	v_mul_f16_e32 v23, 0xbb00, v33
	v_mul_f16_e32 v71, 0xbb00, v24
	v_fmamk_f16 v72, v25, 0xb574, v26
	v_add_f16_e32 v35, v35, v41
	v_add_f16_e32 v21, v21, v44
	v_fmamk_f16 v74, v57, 0xb574, v53
	v_fma_f16 v25, v25, 0x3574, -v29
	v_fma_f16 v29, v40, 0xb9e0, -v37
	;; [unrolled: 1-line block ×6, first 2 shown]
	v_add_f16_e32 v34, v34, v47
	v_add_f16_e32 v19, v19, v50
	v_mul_f16_e32 v58, 0x3a52, v70
	v_fmamk_f16 v38, v38, 0x3a52, v49
	v_fmamk_f16 v54, v54, 0x3a52, v52
	v_fma_f16 v40, v40, 0x39e0, -v49
	v_fma_f16 v39, v42, 0x39e0, -v52
	v_fmamk_f16 v42, v43, 0xb574, v45
	v_fmamk_f16 v49, v59, 0x3a52, v56
	;; [unrolled: 1-line block ×4, first 2 shown]
	v_fma_f16 v23, v43, 0x3574, -v23
	v_fma_f16 v32, v46, 0xb9e0, -v32
	;; [unrolled: 1-line block ×6, first 2 shown]
	v_fmac_f16_e32 v72, 0xb70e, v27
	v_fmamk_f16 v41, v41, 0xbcab, v35
	v_fmamk_f16 v44, v44, 0xbcab, v21
	v_fmac_f16_e32 v74, 0xb70e, v28
	v_fmac_f16_e32 v25, 0xb70e, v27
	;; [unrolled: 1-line block ×5, first 2 shown]
	v_fmamk_f16 v27, v47, 0xbcab, v34
	v_fmamk_f16 v28, v50, 0xbcab, v19
	v_fma_f16 v43, v48, 0xb9e0, -v58
	v_fma_f16 v45, v48, 0x39e0, -v60
	v_fmac_f16_e32 v42, 0xb70e, v31
	v_fmac_f16_e32 v53, 0xb70e, v22
	;; [unrolled: 1-line block ×6, first 2 shown]
	v_pack_b32_f16 v19, v19, v34
	v_add_f16_e32 v22, v38, v41
	v_add_f16_e32 v34, v37, v44
	;; [unrolled: 1-line block ×7, first 2 shown]
	v_pack_b32_f16 v21, v21, v35
	v_add_f16_e32 v29, v29, v41
	v_add_f16_e32 v35, v40, v41
	;; [unrolled: 1-line block ×6, first 2 shown]
	v_sub_f16_e32 v30, v37, v30
	v_add_f16_e32 v37, v23, v32
	v_sub_f16_e32 v47, v27, v33
	v_add_f16_e32 v27, v33, v27
	v_sub_f16_e32 v23, v32, v23
	v_sub_f16_e32 v32, v38, v42
	v_add_f16_e32 v33, v53, v39
	v_add_f16_e32 v43, v25, v29
	v_sub_f16_e32 v44, v34, v51
	v_sub_f16_e32 v25, v29, v25
	v_add_f16_e32 v29, v51, v34
	v_add_f16_e32 v34, v42, v38
	v_add_f16_e32 v38, v55, v40
	v_sub_f16_e32 v45, v35, v26
	v_add_f16_e32 v26, v26, v35
	v_sub_f16_e32 v35, v39, v53
	v_sub_f16_e32 v39, v28, v24
	v_add_f16_e32 v24, v24, v28
	v_sub_f16_e32 v28, v40, v55
	global_store_dword v[2:3], v19, off
	v_add_f16_e32 v19, v72, v22
	v_sub_f16_e32 v41, v31, v74
	v_sub_f16_e32 v22, v22, v72
	v_add_f16_e32 v31, v74, v31
	v_pack_b32_f16 v32, v33, v32
	v_pack_b32_f16 v23, v38, v23
	;; [unrolled: 1-line block ×12, first 2 shown]
	global_store_dword v[2:3], v32, off offset:480
	global_store_dword v[2:3], v23, off offset:960
	;; [unrolled: 1-line block ×13, first 2 shown]
	s_and_b32 exec_lo, exec_lo, s0
	s_cbranch_execz .LBB0_40
; %bb.39:
	v_add_nc_u32_e32 v19, -8, v0
	v_mov_b32_e32 v22, v1
	v_or_b32_e32 v27, 0x250, v0
	v_mov_b32_e32 v28, v1
	v_or_b32_e32 v29, 0x2c8, v0
	v_cndmask_b32_e64 v4, v19, v4, s0
	v_mov_b32_e32 v30, v1
	v_or_b32_e32 v0, 0x340, v0
	v_lshlrev_b64 v[27:28], 2, v[27:28]
	v_mul_i32_i24_e32 v21, 6, v4
	v_lshlrev_b64 v[29:30], 2, v[29:30]
	v_lshlrev_b64 v[0:1], 2, v[0:1]
	;; [unrolled: 1-line block ×3, first 2 shown]
	v_add_co_u32 v25, vcc_lo, s8, v21
	v_add_co_ci_u32_e32 v26, vcc_lo, s9, v22, vcc_lo
	v_add_co_u32 v27, vcc_lo, v5, v27
	v_add_co_ci_u32_e32 v28, vcc_lo, v36, v28, vcc_lo
	s_clause 0x1
	global_load_dwordx4 v[21:24], v[25:26], off offset:472
	global_load_dwordx2 v[25:26], v[25:26], off offset:488
	v_add_co_u32 v29, vcc_lo, v5, v29
	v_add_co_ci_u32_e32 v30, vcc_lo, v36, v30, vcc_lo
	v_add_co_u32 v0, vcc_lo, v5, v0
	v_add_co_ci_u32_e32 v1, vcc_lo, v36, v1, vcc_lo
	s_waitcnt vmcnt(1)
	v_mul_f16_sdwa v4, v7, v21 dst_sel:DWORD dst_unused:UNUSED_PAD src0_sel:DWORD src1_sel:WORD_1
	v_mul_f16_sdwa v5, v6, v21 dst_sel:DWORD dst_unused:UNUSED_PAD src0_sel:DWORD src1_sel:WORD_1
	;; [unrolled: 1-line block ×5, first 2 shown]
	s_waitcnt vmcnt(0)
	v_mul_f16_sdwa v36, v16, v25 dst_sel:DWORD dst_unused:UNUSED_PAD src0_sel:DWORD src1_sel:WORD_1
	v_mul_f16_sdwa v37, v9, v25 dst_sel:DWORD dst_unused:UNUSED_PAD src0_sel:DWORD src1_sel:WORD_1
	;; [unrolled: 1-line block ×7, first 2 shown]
	v_fmac_f16_e32 v4, v6, v21
	v_fma_f16 v5, v7, v21, -v5
	v_fmac_f16_e32 v19, v11, v22
	v_fma_f16 v6, v17, v22, -v31
	v_fmac_f16_e32 v34, v10, v24
	v_fmac_f16_e32 v38, v12, v26
	v_fma_f16 v10, v18, v26, -v39
	v_fmac_f16_e32 v36, v9, v25
	v_fma_f16 v9, v16, v25, -v37
	;; [unrolled: 2-line block ×3, first 2 shown]
	v_fma_f16 v11, v15, v24, -v35
	v_add_f16_e32 v12, v4, v38
	v_add_f16_e32 v13, v5, v10
	v_sub_f16_e32 v5, v5, v10
	v_add_f16_e32 v10, v19, v36
	v_add_f16_e32 v15, v6, v9
	v_sub_f16_e32 v4, v4, v38
	v_sub_f16_e32 v16, v19, v36
	;; [unrolled: 1-line block ×3, first 2 shown]
	v_add_f16_e32 v9, v32, v34
	v_add_f16_e32 v17, v7, v11
	v_sub_f16_e32 v18, v34, v32
	v_sub_f16_e32 v7, v11, v7
	v_add_f16_e32 v11, v10, v12
	v_add_f16_e32 v19, v15, v13
	v_sub_f16_e32 v20, v10, v12
	v_sub_f16_e32 v21, v15, v13
	;; [unrolled: 1-line block ×6, first 2 shown]
	v_add_f16_e32 v22, v18, v16
	v_add_f16_e32 v23, v7, v6
	v_sub_f16_e32 v24, v18, v16
	v_sub_f16_e32 v25, v7, v6
	v_sub_f16_e32 v16, v16, v4
	v_sub_f16_e32 v6, v6, v5
	v_add_f16_e32 v9, v9, v11
	v_add_f16_e32 v11, v17, v19
	v_sub_f16_e32 v18, v4, v18
	v_sub_f16_e32 v7, v5, v7
	v_add_f16_e32 v4, v22, v4
	v_add_f16_e32 v5, v23, v5
	v_mul_f16_e32 v12, 0x3a52, v12
	v_mul_f16_e32 v13, 0x3a52, v13
	;; [unrolled: 1-line block ×8, first 2 shown]
	v_add_f16_e32 v8, v8, v9
	v_add_f16_e32 v14, v14, v11
	v_fmamk_f16 v10, v10, 0x2b26, v12
	v_fmamk_f16 v15, v15, 0x2b26, v13
	v_fma_f16 v17, v20, 0x39e0, -v17
	v_fma_f16 v19, v21, 0x39e0, -v19
	;; [unrolled: 1-line block ×4, first 2 shown]
	v_fmamk_f16 v20, v18, 0xb574, v22
	v_fmamk_f16 v21, v7, 0xb574, v23
	v_fma_f16 v16, v16, 0xbb00, -v22
	v_fma_f16 v6, v6, 0xbb00, -v23
	;; [unrolled: 1-line block ×4, first 2 shown]
	v_fmamk_f16 v9, v9, 0xbcab, v8
	v_fmamk_f16 v11, v11, 0xbcab, v14
	v_fmac_f16_e32 v20, 0xb70e, v4
	v_fmac_f16_e32 v21, 0xb70e, v5
	;; [unrolled: 1-line block ×6, first 2 shown]
	v_pack_b32_f16 v4, v8, v14
	v_add_f16_e32 v5, v10, v9
	v_add_f16_e32 v8, v15, v11
	;; [unrolled: 1-line block ×6, first 2 shown]
	global_store_dword v[2:3], v4, off offset:448
	v_add_f16_e32 v4, v21, v5
	v_sub_f16_e32 v12, v8, v20
	v_add_f16_e32 v13, v7, v9
	v_sub_f16_e32 v15, v11, v18
	v_sub_f16_e32 v17, v10, v6
	v_add_f16_e32 v19, v16, v14
	v_add_f16_e32 v6, v6, v10
	v_sub_f16_e32 v10, v14, v16
	v_sub_f16_e32 v7, v9, v7
	v_add_f16_e32 v9, v18, v11
	v_sub_f16_e32 v5, v5, v21
	v_add_f16_e32 v8, v20, v8
	v_pack_b32_f16 v4, v4, v12
	v_pack_b32_f16 v11, v13, v15
	;; [unrolled: 1-line block ×6, first 2 shown]
	global_store_dword v[2:3], v4, off offset:928
	global_store_dword v[2:3], v11, off offset:1408
	global_store_dword v[2:3], v12, off offset:1888
	global_store_dword v[27:28], v6, off
	global_store_dword v[29:30], v7, off
	;; [unrolled: 1-line block ×3, first 2 shown]
.LBB0_40:
	s_endpgm
	.section	.rodata,"a",@progbits
	.p2align	6, 0x0
	.amdhsa_kernel fft_rtc_back_len840_factors_2_2_2_3_5_7_wgs_56_tpt_56_halfLds_half_ip_CI_unitstride_sbrr_dirReg
		.amdhsa_group_segment_fixed_size 0
		.amdhsa_private_segment_fixed_size 0
		.amdhsa_kernarg_size 88
		.amdhsa_user_sgpr_count 6
		.amdhsa_user_sgpr_private_segment_buffer 1
		.amdhsa_user_sgpr_dispatch_ptr 0
		.amdhsa_user_sgpr_queue_ptr 0
		.amdhsa_user_sgpr_kernarg_segment_ptr 1
		.amdhsa_user_sgpr_dispatch_id 0
		.amdhsa_user_sgpr_flat_scratch_init 0
		.amdhsa_user_sgpr_private_segment_size 0
		.amdhsa_wavefront_size32 1
		.amdhsa_uses_dynamic_stack 0
		.amdhsa_system_sgpr_private_segment_wavefront_offset 0
		.amdhsa_system_sgpr_workgroup_id_x 1
		.amdhsa_system_sgpr_workgroup_id_y 0
		.amdhsa_system_sgpr_workgroup_id_z 0
		.amdhsa_system_sgpr_workgroup_info 0
		.amdhsa_system_vgpr_workitem_id 0
		.amdhsa_next_free_vgpr 93
		.amdhsa_next_free_sgpr 21
		.amdhsa_reserve_vcc 1
		.amdhsa_reserve_flat_scratch 0
		.amdhsa_float_round_mode_32 0
		.amdhsa_float_round_mode_16_64 0
		.amdhsa_float_denorm_mode_32 3
		.amdhsa_float_denorm_mode_16_64 3
		.amdhsa_dx10_clamp 1
		.amdhsa_ieee_mode 1
		.amdhsa_fp16_overflow 0
		.amdhsa_workgroup_processor_mode 1
		.amdhsa_memory_ordered 1
		.amdhsa_forward_progress 0
		.amdhsa_shared_vgpr_count 0
		.amdhsa_exception_fp_ieee_invalid_op 0
		.amdhsa_exception_fp_denorm_src 0
		.amdhsa_exception_fp_ieee_div_zero 0
		.amdhsa_exception_fp_ieee_overflow 0
		.amdhsa_exception_fp_ieee_underflow 0
		.amdhsa_exception_fp_ieee_inexact 0
		.amdhsa_exception_int_div_zero 0
	.end_amdhsa_kernel
	.text
.Lfunc_end0:
	.size	fft_rtc_back_len840_factors_2_2_2_3_5_7_wgs_56_tpt_56_halfLds_half_ip_CI_unitstride_sbrr_dirReg, .Lfunc_end0-fft_rtc_back_len840_factors_2_2_2_3_5_7_wgs_56_tpt_56_halfLds_half_ip_CI_unitstride_sbrr_dirReg
                                        ; -- End function
	.section	.AMDGPU.csdata,"",@progbits
; Kernel info:
; codeLenInByte = 11068
; NumSgprs: 23
; NumVgprs: 93
; ScratchSize: 0
; MemoryBound: 0
; FloatMode: 240
; IeeeMode: 1
; LDSByteSize: 0 bytes/workgroup (compile time only)
; SGPRBlocks: 2
; VGPRBlocks: 11
; NumSGPRsForWavesPerEU: 23
; NumVGPRsForWavesPerEU: 93
; Occupancy: 10
; WaveLimiterHint : 1
; COMPUTE_PGM_RSRC2:SCRATCH_EN: 0
; COMPUTE_PGM_RSRC2:USER_SGPR: 6
; COMPUTE_PGM_RSRC2:TRAP_HANDLER: 0
; COMPUTE_PGM_RSRC2:TGID_X_EN: 1
; COMPUTE_PGM_RSRC2:TGID_Y_EN: 0
; COMPUTE_PGM_RSRC2:TGID_Z_EN: 0
; COMPUTE_PGM_RSRC2:TIDIG_COMP_CNT: 0
	.text
	.p2alignl 6, 3214868480
	.fill 48, 4, 3214868480
	.type	__hip_cuid_d27bbe8f328df0f,@object ; @__hip_cuid_d27bbe8f328df0f
	.section	.bss,"aw",@nobits
	.globl	__hip_cuid_d27bbe8f328df0f
__hip_cuid_d27bbe8f328df0f:
	.byte	0                               ; 0x0
	.size	__hip_cuid_d27bbe8f328df0f, 1

	.ident	"AMD clang version 19.0.0git (https://github.com/RadeonOpenCompute/llvm-project roc-6.4.0 25133 c7fe45cf4b819c5991fe208aaa96edf142730f1d)"
	.section	".note.GNU-stack","",@progbits
	.addrsig
	.addrsig_sym __hip_cuid_d27bbe8f328df0f
	.amdgpu_metadata
---
amdhsa.kernels:
  - .args:
      - .actual_access:  read_only
        .address_space:  global
        .offset:         0
        .size:           8
        .value_kind:     global_buffer
      - .offset:         8
        .size:           8
        .value_kind:     by_value
      - .actual_access:  read_only
        .address_space:  global
        .offset:         16
        .size:           8
        .value_kind:     global_buffer
      - .actual_access:  read_only
        .address_space:  global
        .offset:         24
        .size:           8
        .value_kind:     global_buffer
      - .offset:         32
        .size:           8
        .value_kind:     by_value
      - .actual_access:  read_only
        .address_space:  global
        .offset:         40
        .size:           8
        .value_kind:     global_buffer
      - .actual_access:  read_only
        .address_space:  global
        .offset:         48
        .size:           8
        .value_kind:     global_buffer
      - .offset:         56
        .size:           4
        .value_kind:     by_value
      - .actual_access:  read_only
        .address_space:  global
        .offset:         64
        .size:           8
        .value_kind:     global_buffer
      - .actual_access:  read_only
        .address_space:  global
        .offset:         72
        .size:           8
        .value_kind:     global_buffer
      - .address_space:  global
        .offset:         80
        .size:           8
        .value_kind:     global_buffer
    .group_segment_fixed_size: 0
    .kernarg_segment_align: 8
    .kernarg_segment_size: 88
    .language:       OpenCL C
    .language_version:
      - 2
      - 0
    .max_flat_workgroup_size: 56
    .name:           fft_rtc_back_len840_factors_2_2_2_3_5_7_wgs_56_tpt_56_halfLds_half_ip_CI_unitstride_sbrr_dirReg
    .private_segment_fixed_size: 0
    .sgpr_count:     23
    .sgpr_spill_count: 0
    .symbol:         fft_rtc_back_len840_factors_2_2_2_3_5_7_wgs_56_tpt_56_halfLds_half_ip_CI_unitstride_sbrr_dirReg.kd
    .uniform_work_group_size: 1
    .uses_dynamic_stack: false
    .vgpr_count:     93
    .vgpr_spill_count: 0
    .wavefront_size: 32
    .workgroup_processor_mode: 1
amdhsa.target:   amdgcn-amd-amdhsa--gfx1030
amdhsa.version:
  - 1
  - 2
...

	.end_amdgpu_metadata
